;; amdgpu-corpus repo=ROCm/rocPRIM kind=compiled arch=gfx1100 opt=O3
	.text
	.amdgcn_target "amdgcn-amd-amdhsa--gfx1100"
	.amdhsa_code_object_version 6
	.section	.text._Z30block_run_length_decode_kernelIiiLj128ELj2ELj4ELj100EEvPKT_PKT0_PS0_b,"axG",@progbits,_Z30block_run_length_decode_kernelIiiLj128ELj2ELj4ELj100EEvPKT_PKT0_PS0_b,comdat
	.protected	_Z30block_run_length_decode_kernelIiiLj128ELj2ELj4ELj100EEvPKT_PKT0_PS0_b ; -- Begin function _Z30block_run_length_decode_kernelIiiLj128ELj2ELj4ELj100EEvPKT_PKT0_PS0_b
	.globl	_Z30block_run_length_decode_kernelIiiLj128ELj2ELj4ELj100EEvPKT_PKT0_PS0_b
	.p2align	8
	.type	_Z30block_run_length_decode_kernelIiiLj128ELj2ELj4ELj100EEvPKT_PKT0_PS0_b,@function
_Z30block_run_length_decode_kernelIiiLj128ELj2ELj4ELj100EEvPKT_PKT0_PS0_b: ; @_Z30block_run_length_decode_kernelIiiLj128ELj2ELj4ELj100EEvPKT_PKT0_PS0_b
; %bb.0:
	s_clause 0x1
	s_load_b128 s[4:7], s[0:1], 0x0
	s_load_b64 s[8:9], s[0:1], 0x10
	v_lshl_or_b32 v7, s15, 7, v0
	v_mov_b32_e32 v2, 0
	s_load_b32 s0, s[0:1], 0x18
	s_mov_b32 s1, 0
	v_lshlrev_b32_e32 v9, 2, v0
	v_dual_mov_b32 v10, 0x80 :: v_dual_lshlrev_b32 v1, 1, v7
	s_delay_alu instid0(VALU_DEP_1) | instskip(SKIP_1) | instid1(VALU_DEP_1)
	v_lshlrev_b64 v[3:4], 2, v[1:2]
	v_lshlrev_b32_e32 v1, 3, v0
	v_or_b32_e32 v8, 0x400, v1
	s_waitcnt lgkmcnt(0)
	s_delay_alu instid0(VALU_DEP_3) | instskip(NEXT) | instid1(VALU_DEP_4)
	v_add_co_u32 v5, vcc_lo, s4, v3
	v_add_co_ci_u32_e32 v6, vcc_lo, s5, v4, vcc_lo
	v_add_co_u32 v3, vcc_lo, s6, v3
	v_add_co_ci_u32_e32 v4, vcc_lo, s7, v4, vcc_lo
	s_bitcmp1_b32 s0, 0
	global_load_b64 v[5:6], v[5:6], off
	global_load_b64 v[3:4], v[3:4], off
	s_cselect_b32 s2, -1, 0
	s_lshl_b32 s4, s15, 8
	s_mov_b32 s5, s1
	s_add_i32 s0, s4, 0x100
	s_waitcnt vmcnt(1)
	ds_store_b64 v1, v[5:6]
	s_waitcnt vmcnt(0)
	ds_store_2addr_b32 v8, v3, v4 offset1:1
	s_lshl_b64 s[10:11], s[0:1], 2
	s_waitcnt lgkmcnt(0)
	s_add_u32 s10, s6, s10
	s_addc_u32 s11, s7, s11
	s_lshl_b64 s[4:5], s[4:5], 2
	s_barrier
	s_add_u32 s4, s6, s4
	s_addc_u32 s5, s7, s5
	buffer_gl0_inv
	s_clause 0x1
	s_load_b32 s0, s[10:11], 0x0
	s_load_b32 s3, s[4:5], 0x0
	v_lshlrev_b32_e32 v1, 2, v7
	ds_load_b32 v8, v2 offset:1536
	v_lshlrev_b64 v[3:4], 2, v[1:2]
	s_delay_alu instid0(VALU_DEP_1) | instskip(NEXT) | instid1(VALU_DEP_2)
	v_add_co_u32 v0, vcc_lo, v3, s8
	v_add_co_ci_u32_e32 v1, vcc_lo, s9, v4, vcc_lo
	s_delay_alu instid0(VALU_DEP_2) | instskip(NEXT) | instid1(VALU_DEP_2)
	v_add_co_u32 v4, vcc_lo, v0, 8
	v_add_co_ci_u32_e32 v5, vcc_lo, 0, v1, vcc_lo
	s_waitcnt lgkmcnt(0)
	s_sub_i32 s0, s0, s3
	s_delay_alu instid0(SALU_CYCLE_1)
	s_cmp_gt_i32 s0, 0
	s_cselect_b32 s3, -1, 0
	s_branch .LBB0_2
.LBB0_1:                                ;   in Loop: Header=BB0_2 Depth=1
	s_add_i32 s1, s1, 1
	s_delay_alu instid0(SALU_CYCLE_1)
	s_cmpk_eq_i32 s1, 0x64
	s_cbranch_scc1 .LBB0_13
.LBB0_2:                                ; =>This Loop Header: Depth=1
                                        ;     Child Loop BB0_5 Depth 2
	s_and_not1_b32 vcc_lo, exec_lo, s3
	s_cbranch_vccnz .LBB0_1
; %bb.3:                                ;   in Loop: Header=BB0_2 Depth=1
	v_dual_mov_b32 v7, v5 :: v_dual_mov_b32 v6, v4
	s_mov_b32 s4, 0
	s_branch .LBB0_5
.LBB0_4:                                ;   in Loop: Header=BB0_5 Depth=2
	v_add_co_u32 v6, vcc_lo, 0x800, v6
	v_add_co_ci_u32_e32 v7, vcc_lo, 0, v7, vcc_lo
	s_addk_i32 s4, 0x200
	s_delay_alu instid0(SALU_CYCLE_1)
	s_cmp_lt_i32 s4, s0
	s_cbranch_scc0 .LBB0_1
.LBB0_5:                                ;   Parent Loop BB0_2 Depth=1
                                        ; =>  This Inner Loop Header: Depth=2
	s_waitcnt lgkmcnt(0)
	v_add_nc_u32_e32 v3, s4, v9
	s_delay_alu instid0(VALU_DEP_1) | instskip(SKIP_2) | instid1(VALU_DEP_2)
	v_cmp_gt_u32_e32 vcc_lo, v8, v3
	v_cndmask_b32_e64 v1, 0xc0, 64, vcc_lo
	v_cndmask_b32_e64 v0, 0x81, 0, vcc_lo
	v_dual_cndmask_b32 v11, 0x100, v10 :: v_dual_lshlrev_b32 v2, 2, v1
	v_or_b32_e32 v12, 1, v1
	ds_load_b32 v2, v2 offset:1024
	s_waitcnt lgkmcnt(0)
	v_cmp_gt_u32_e32 vcc_lo, v2, v3
	v_dual_cndmask_b32 v0, v12, v0 :: v_dual_cndmask_b32 v1, v11, v1
	s_delay_alu instid0(VALU_DEP_1) | instskip(NEXT) | instid1(VALU_DEP_1)
	v_sub_nc_u32_e32 v2, v1, v0
	v_lshrrev_b16 v11, 15, v2
	s_delay_alu instid0(VALU_DEP_1) | instskip(NEXT) | instid1(VALU_DEP_1)
	v_add_nc_u16 v2, v2, v11
	v_ashrrev_i16 v2, 1, v2
	s_delay_alu instid0(VALU_DEP_1) | instskip(NEXT) | instid1(VALU_DEP_1)
	v_bfe_i32 v2, v2, 0, 16
	v_add_nc_u32_e32 v2, v0, v2
	s_delay_alu instid0(VALU_DEP_1) | instskip(NEXT) | instid1(VALU_DEP_1)
	v_min_i32_e32 v2, 0xff, v2
	v_add_nc_u32_e32 v12, 1, v2
	v_lshlrev_b32_e32 v11, 2, v2
	ds_load_b32 v11, v11 offset:1024
	s_waitcnt lgkmcnt(0)
	v_cmp_gt_u32_e32 vcc_lo, v11, v3
	v_dual_cndmask_b32 v0, v12, v0 :: v_dual_cndmask_b32 v1, v1, v2
	s_delay_alu instid0(VALU_DEP_1) | instskip(NEXT) | instid1(VALU_DEP_1)
	v_sub_nc_u32_e32 v2, v1, v0
	v_lshrrev_b16 v11, 15, v2
	s_delay_alu instid0(VALU_DEP_1) | instskip(NEXT) | instid1(VALU_DEP_1)
	v_add_nc_u16 v2, v2, v11
	v_ashrrev_i16 v2, 1, v2
	s_delay_alu instid0(VALU_DEP_1) | instskip(NEXT) | instid1(VALU_DEP_1)
	v_bfe_i32 v2, v2, 0, 16
	v_add_nc_u32_e32 v2, v0, v2
	s_delay_alu instid0(VALU_DEP_1) | instskip(NEXT) | instid1(VALU_DEP_1)
	v_min_i32_e32 v2, 0xff, v2
	v_lshlrev_b32_e32 v11, 2, v2
	v_add_nc_u32_e32 v12, 1, v2
	ds_load_b32 v11, v11 offset:1024
	s_waitcnt lgkmcnt(0)
	v_cmp_gt_u32_e32 vcc_lo, v11, v3
	v_dual_cndmask_b32 v0, v12, v0 :: v_dual_cndmask_b32 v1, v1, v2
	s_delay_alu instid0(VALU_DEP_1) | instskip(NEXT) | instid1(VALU_DEP_1)
	v_sub_nc_u32_e32 v2, v1, v0
	v_lshrrev_b16 v11, 15, v2
	s_delay_alu instid0(VALU_DEP_1) | instskip(NEXT) | instid1(VALU_DEP_1)
	v_add_nc_u16 v2, v2, v11
	v_ashrrev_i16 v2, 1, v2
	s_delay_alu instid0(VALU_DEP_1) | instskip(NEXT) | instid1(VALU_DEP_1)
	v_bfe_i32 v2, v2, 0, 16
	v_add_nc_u32_e32 v2, v0, v2
	s_delay_alu instid0(VALU_DEP_1) | instskip(NEXT) | instid1(VALU_DEP_1)
	v_min_i32_e32 v2, 0xff, v2
	v_lshlrev_b32_e32 v11, 2, v2
	v_add_nc_u32_e32 v12, 1, v2
	;; [unrolled: 17-line block ×6, first 2 shown]
	ds_load_b32 v2, v2 offset:1024
	s_waitcnt lgkmcnt(0)
	v_cmp_gt_u32_e32 vcc_lo, v2, v3
	v_cndmask_b32_e32 v11, v1, v0, vcc_lo
	v_add_nc_u32_e32 v1, 1, v3
	s_delay_alu instid0(VALU_DEP_2) | instskip(NEXT) | instid1(VALU_DEP_1)
	v_lshlrev_b32_e32 v2, 2, v11
	v_add_nc_u32_e32 v0, -4, v2
	ds_load_b32 v12, v2 offset:1024
	ds_load_b32 v0, v0
	s_waitcnt lgkmcnt(1)
	v_cmp_eq_u32_e32 vcc_lo, v1, v12
	s_waitcnt lgkmcnt(0)
	v_mov_b32_e32 v1, v0
	s_and_saveexec_b32 s5, vcc_lo
	s_cbranch_execz .LBB0_7
; %bb.6:                                ;   in Loop: Header=BB0_5 Depth=2
	ds_load_b32 v1, v2
	ds_load_b32 v12, v2 offset:1028
	v_add_nc_u32_e32 v11, 1, v11
.LBB0_7:                                ;   in Loop: Header=BB0_5 Depth=2
	s_or_b32 exec_lo, exec_lo, s5
	v_add_nc_u32_e32 v2, 2, v3
	s_waitcnt lgkmcnt(0)
	s_delay_alu instid0(VALU_DEP_1)
	v_cmp_eq_u32_e32 vcc_lo, v2, v12
	v_mov_b32_e32 v2, v1
	s_and_saveexec_b32 s5, vcc_lo
	s_cbranch_execz .LBB0_9
; %bb.8:                                ;   in Loop: Header=BB0_5 Depth=2
	v_add_nc_u32_e32 v13, 1, v11
	v_lshlrev_b32_e32 v2, 2, v11
	s_delay_alu instid0(VALU_DEP_2)
	v_lshlrev_b32_e32 v11, 2, v13
	ds_load_b32 v2, v2
	ds_load_b32 v12, v11 offset:1024
	v_mov_b32_e32 v11, v13
.LBB0_9:                                ;   in Loop: Header=BB0_5 Depth=2
	s_or_b32 exec_lo, exec_lo, s5
	v_add_nc_u32_e32 v3, 3, v3
	s_waitcnt lgkmcnt(0)
	s_delay_alu instid0(VALU_DEP_1)
	v_cmp_eq_u32_e32 vcc_lo, v3, v12
	v_mov_b32_e32 v3, v2
	s_and_saveexec_b32 s5, vcc_lo
	s_cbranch_execz .LBB0_11
; %bb.10:                               ;   in Loop: Header=BB0_5 Depth=2
	v_lshlrev_b32_e32 v3, 2, v11
	ds_load_b32 v3, v3
.LBB0_11:                               ;   in Loop: Header=BB0_5 Depth=2
	s_or_b32 exec_lo, exec_lo, s5
	s_delay_alu instid0(SALU_CYCLE_1)
	s_and_not1_b32 vcc_lo, exec_lo, s2
	s_cbranch_vccnz .LBB0_4
; %bb.12:                               ;   in Loop: Header=BB0_5 Depth=2
	s_waitcnt lgkmcnt(0)
	global_store_b128 v[6:7], v[0:3], off offset:-8
	s_branch .LBB0_4
.LBB0_13:
	s_nop 0
	s_sendmsg sendmsg(MSG_DEALLOC_VGPRS)
	s_endpgm
	.section	.rodata,"a",@progbits
	.p2align	6, 0x0
	.amdhsa_kernel _Z30block_run_length_decode_kernelIiiLj128ELj2ELj4ELj100EEvPKT_PKT0_PS0_b
		.amdhsa_group_segment_fixed_size 2048
		.amdhsa_private_segment_fixed_size 0
		.amdhsa_kernarg_size 28
		.amdhsa_user_sgpr_count 15
		.amdhsa_user_sgpr_dispatch_ptr 0
		.amdhsa_user_sgpr_queue_ptr 0
		.amdhsa_user_sgpr_kernarg_segment_ptr 1
		.amdhsa_user_sgpr_dispatch_id 0
		.amdhsa_user_sgpr_private_segment_size 0
		.amdhsa_wavefront_size32 1
		.amdhsa_uses_dynamic_stack 0
		.amdhsa_enable_private_segment 0
		.amdhsa_system_sgpr_workgroup_id_x 1
		.amdhsa_system_sgpr_workgroup_id_y 0
		.amdhsa_system_sgpr_workgroup_id_z 0
		.amdhsa_system_sgpr_workgroup_info 0
		.amdhsa_system_vgpr_workitem_id 0
		.amdhsa_next_free_vgpr 14
		.amdhsa_next_free_sgpr 16
		.amdhsa_reserve_vcc 1
		.amdhsa_float_round_mode_32 0
		.amdhsa_float_round_mode_16_64 0
		.amdhsa_float_denorm_mode_32 3
		.amdhsa_float_denorm_mode_16_64 3
		.amdhsa_dx10_clamp 1
		.amdhsa_ieee_mode 1
		.amdhsa_fp16_overflow 0
		.amdhsa_workgroup_processor_mode 1
		.amdhsa_memory_ordered 1
		.amdhsa_forward_progress 0
		.amdhsa_shared_vgpr_count 0
		.amdhsa_exception_fp_ieee_invalid_op 0
		.amdhsa_exception_fp_denorm_src 0
		.amdhsa_exception_fp_ieee_div_zero 0
		.amdhsa_exception_fp_ieee_overflow 0
		.amdhsa_exception_fp_ieee_underflow 0
		.amdhsa_exception_fp_ieee_inexact 0
		.amdhsa_exception_int_div_zero 0
	.end_amdhsa_kernel
	.section	.text._Z30block_run_length_decode_kernelIiiLj128ELj2ELj4ELj100EEvPKT_PKT0_PS0_b,"axG",@progbits,_Z30block_run_length_decode_kernelIiiLj128ELj2ELj4ELj100EEvPKT_PKT0_PS0_b,comdat
.Lfunc_end0:
	.size	_Z30block_run_length_decode_kernelIiiLj128ELj2ELj4ELj100EEvPKT_PKT0_PS0_b, .Lfunc_end0-_Z30block_run_length_decode_kernelIiiLj128ELj2ELj4ELj100EEvPKT_PKT0_PS0_b
                                        ; -- End function
	.section	.AMDGPU.csdata,"",@progbits
; Kernel info:
; codeLenInByte = 1368
; NumSgprs: 18
; NumVgprs: 14
; ScratchSize: 0
; MemoryBound: 0
; FloatMode: 240
; IeeeMode: 1
; LDSByteSize: 2048 bytes/workgroup (compile time only)
; SGPRBlocks: 2
; VGPRBlocks: 1
; NumSGPRsForWavesPerEU: 18
; NumVGPRsForWavesPerEU: 14
; Occupancy: 16
; WaveLimiterHint : 0
; COMPUTE_PGM_RSRC2:SCRATCH_EN: 0
; COMPUTE_PGM_RSRC2:USER_SGPR: 15
; COMPUTE_PGM_RSRC2:TRAP_HANDLER: 0
; COMPUTE_PGM_RSRC2:TGID_X_EN: 1
; COMPUTE_PGM_RSRC2:TGID_Y_EN: 0
; COMPUTE_PGM_RSRC2:TGID_Z_EN: 0
; COMPUTE_PGM_RSRC2:TIDIG_COMP_CNT: 0
	.section	.text._Z30block_run_length_decode_kernelIdxLj128ELj2ELj4ELj100EEvPKT_PKT0_PS0_b,"axG",@progbits,_Z30block_run_length_decode_kernelIdxLj128ELj2ELj4ELj100EEvPKT_PKT0_PS0_b,comdat
	.protected	_Z30block_run_length_decode_kernelIdxLj128ELj2ELj4ELj100EEvPKT_PKT0_PS0_b ; -- Begin function _Z30block_run_length_decode_kernelIdxLj128ELj2ELj4ELj100EEvPKT_PKT0_PS0_b
	.globl	_Z30block_run_length_decode_kernelIdxLj128ELj2ELj4ELj100EEvPKT_PKT0_PS0_b
	.p2align	8
	.type	_Z30block_run_length_decode_kernelIdxLj128ELj2ELj4ELj100EEvPKT_PKT0_PS0_b,@function
_Z30block_run_length_decode_kernelIdxLj128ELj2ELj4ELj100EEvPKT_PKT0_PS0_b: ; @_Z30block_run_length_decode_kernelIdxLj128ELj2ELj4ELj100EEvPKT_PKT0_PS0_b
; %bb.0:
	s_clause 0x1
	s_load_b128 s[4:7], s[0:1], 0x0
	s_load_b64 s[2:3], s[0:1], 0x10
	v_lshl_or_b32 v10, s15, 7, v0
	v_mov_b32_e32 v9, 0
	s_load_b32 s0, s[0:1], 0x18
	s_mov_b32 s1, 0
	v_dual_mov_b32 v14, 0x80 :: v_dual_lshlrev_b32 v13, 2, v0
	v_lshlrev_b32_e32 v8, 1, v10
	s_delay_alu instid0(VALU_DEP_1) | instskip(SKIP_1) | instid1(VALU_DEP_1)
	v_lshlrev_b64 v[1:2], 3, v[8:9]
	s_waitcnt lgkmcnt(0)
	v_add_co_u32 v3, vcc_lo, s4, v1
	s_delay_alu instid0(VALU_DEP_2)
	v_add_co_ci_u32_e32 v4, vcc_lo, s5, v2, vcc_lo
	v_add_co_u32 v5, vcc_lo, s6, v1
	v_add_co_ci_u32_e32 v6, vcc_lo, s7, v2, vcc_lo
	s_bitcmp1_b32 s0, 0
	global_load_b128 v[1:4], v[3:4], off
	global_load_b128 v[5:8], v[5:6], off
	s_cselect_b32 s8, -1, 0
	s_lshl_b32 s4, s15, 8
	s_mov_b32 s5, s1
	s_add_i32 s0, s4, 0x100
	s_waitcnt vmcnt(0)
	v_lshlrev_b32_e32 v6, 4, v0
	s_lshl_b64 s[10:11], s[0:1], 3
	v_lshlrev_b32_e32 v8, 3, v0
	s_add_u32 s10, s6, s10
	s_addc_u32 s11, s7, s11
	s_lshl_b64 s[4:5], s[4:5], 3
	ds_store_b64 v6, v[1:2]
	ds_store_b32 v8, v5 offset:2048
	ds_store_b64 v6, v[3:4] offset:8
	ds_store_b32 v8, v7 offset:2052
	s_add_u32 s4, s6, s4
	s_addc_u32 s5, s7, s5
	s_waitcnt lgkmcnt(0)
	s_barrier
	buffer_gl0_inv
	s_clause 0x1
	s_load_b64 s[6:7], s[10:11], 0x0
	s_load_b64 s[4:5], s[4:5], 0x0
	v_lshlrev_b32_e32 v8, 2, v10
	ds_load_b32 v12, v9 offset:2560
	v_lshlrev_b64 v[1:2], 3, v[8:9]
	s_delay_alu instid0(VALU_DEP_1) | instskip(NEXT) | instid1(VALU_DEP_2)
	v_add_co_u32 v0, vcc_lo, v1, s2
	v_add_co_ci_u32_e32 v1, vcc_lo, s3, v2, vcc_lo
	s_delay_alu instid0(VALU_DEP_2) | instskip(NEXT) | instid1(VALU_DEP_2)
	v_add_co_u32 v8, vcc_lo, v0, 16
	v_add_co_ci_u32_e32 v9, vcc_lo, 0, v1, vcc_lo
	s_waitcnt lgkmcnt(0)
	s_sub_u32 s2, s6, s4
	s_subb_u32 s3, s7, s5
	s_delay_alu instid0(SALU_CYCLE_1)
	v_cmp_gt_i64_e64 s0, s[2:3], 0
	s_branch .LBB1_2
.LBB1_1:                                ;   in Loop: Header=BB1_2 Depth=1
	s_add_i32 s1, s1, 1
	s_delay_alu instid0(SALU_CYCLE_1)
	s_cmpk_eq_i32 s1, 0x64
	s_cbranch_scc1 .LBB1_13
.LBB1_2:                                ; =>This Loop Header: Depth=1
                                        ;     Child Loop BB1_5 Depth 2
	s_delay_alu instid0(VALU_DEP_1)
	s_and_not1_b32 vcc_lo, exec_lo, s0
	s_cbranch_vccnz .LBB1_1
; %bb.3:                                ;   in Loop: Header=BB1_2 Depth=1
	v_dual_mov_b32 v11, v9 :: v_dual_mov_b32 v10, v8
	s_mov_b64 s[4:5], 0
	s_branch .LBB1_5
.LBB1_4:                                ;   in Loop: Header=BB1_5 Depth=2
	s_add_u32 s4, s4, 0x200
	s_addc_u32 s5, s5, 0
	v_add_co_u32 v10, vcc_lo, 0x1000, v10
	v_cmp_lt_i64_e64 s6, s[4:5], s[2:3]
	v_add_co_ci_u32_e32 v11, vcc_lo, 0, v11, vcc_lo
	s_delay_alu instid0(VALU_DEP_2)
	s_and_b32 vcc_lo, exec_lo, s6
	s_cbranch_vccz .LBB1_1
.LBB1_5:                                ;   Parent Loop BB1_2 Depth=1
                                        ; =>  This Inner Loop Header: Depth=2
	s_waitcnt lgkmcnt(0)
	v_add_co_u32 v6, null, v13, s4
	s_delay_alu instid0(VALU_DEP_1) | instskip(SKIP_2) | instid1(VALU_DEP_2)
	v_cmp_gt_u32_e32 vcc_lo, v12, v6
	v_cndmask_b32_e64 v1, 0xc0, 64, vcc_lo
	v_cndmask_b32_e64 v0, 0x81, 0, vcc_lo
	v_dual_cndmask_b32 v3, 0x100, v14 :: v_dual_lshlrev_b32 v2, 2, v1
	v_or_b32_e32 v4, 1, v1
	ds_load_b32 v2, v2 offset:2048
	s_waitcnt lgkmcnt(0)
	v_cmp_gt_u32_e32 vcc_lo, v2, v6
	v_dual_cndmask_b32 v0, v4, v0 :: v_dual_cndmask_b32 v1, v3, v1
	s_delay_alu instid0(VALU_DEP_1) | instskip(NEXT) | instid1(VALU_DEP_1)
	v_sub_nc_u32_e32 v2, v1, v0
	v_lshrrev_b16 v3, 15, v2
	s_delay_alu instid0(VALU_DEP_1) | instskip(NEXT) | instid1(VALU_DEP_1)
	v_add_nc_u16 v2, v2, v3
	v_ashrrev_i16 v2, 1, v2
	s_delay_alu instid0(VALU_DEP_1) | instskip(NEXT) | instid1(VALU_DEP_1)
	v_bfe_i32 v2, v2, 0, 16
	v_add_nc_u32_e32 v2, v0, v2
	s_delay_alu instid0(VALU_DEP_1) | instskip(NEXT) | instid1(VALU_DEP_1)
	v_min_i32_e32 v2, 0xff, v2
	v_add_nc_u32_e32 v4, 1, v2
	v_lshlrev_b32_e32 v3, 2, v2
	ds_load_b32 v3, v3 offset:2048
	s_waitcnt lgkmcnt(0)
	v_cmp_gt_u32_e32 vcc_lo, v3, v6
	v_dual_cndmask_b32 v0, v4, v0 :: v_dual_cndmask_b32 v1, v1, v2
	s_delay_alu instid0(VALU_DEP_1) | instskip(NEXT) | instid1(VALU_DEP_1)
	v_sub_nc_u32_e32 v2, v1, v0
	v_lshrrev_b16 v3, 15, v2
	s_delay_alu instid0(VALU_DEP_1) | instskip(NEXT) | instid1(VALU_DEP_1)
	v_add_nc_u16 v2, v2, v3
	v_ashrrev_i16 v2, 1, v2
	s_delay_alu instid0(VALU_DEP_1) | instskip(NEXT) | instid1(VALU_DEP_1)
	v_bfe_i32 v2, v2, 0, 16
	v_add_nc_u32_e32 v2, v0, v2
	s_delay_alu instid0(VALU_DEP_1) | instskip(NEXT) | instid1(VALU_DEP_1)
	v_min_i32_e32 v2, 0xff, v2
	v_lshlrev_b32_e32 v3, 2, v2
	v_add_nc_u32_e32 v4, 1, v2
	ds_load_b32 v3, v3 offset:2048
	s_waitcnt lgkmcnt(0)
	v_cmp_gt_u32_e32 vcc_lo, v3, v6
	v_dual_cndmask_b32 v0, v4, v0 :: v_dual_cndmask_b32 v1, v1, v2
	s_delay_alu instid0(VALU_DEP_1) | instskip(NEXT) | instid1(VALU_DEP_1)
	v_sub_nc_u32_e32 v2, v1, v0
	v_lshrrev_b16 v3, 15, v2
	s_delay_alu instid0(VALU_DEP_1) | instskip(NEXT) | instid1(VALU_DEP_1)
	v_add_nc_u16 v2, v2, v3
	v_ashrrev_i16 v2, 1, v2
	s_delay_alu instid0(VALU_DEP_1) | instskip(NEXT) | instid1(VALU_DEP_1)
	v_bfe_i32 v2, v2, 0, 16
	v_add_nc_u32_e32 v2, v0, v2
	s_delay_alu instid0(VALU_DEP_1) | instskip(NEXT) | instid1(VALU_DEP_1)
	v_min_i32_e32 v2, 0xff, v2
	v_lshlrev_b32_e32 v3, 2, v2
	v_add_nc_u32_e32 v4, 1, v2
	ds_load_b32 v3, v3 offset:2048
	s_waitcnt lgkmcnt(0)
	v_cmp_gt_u32_e32 vcc_lo, v3, v6
	v_dual_cndmask_b32 v0, v4, v0 :: v_dual_cndmask_b32 v1, v1, v2
	s_delay_alu instid0(VALU_DEP_1) | instskip(NEXT) | instid1(VALU_DEP_1)
	v_sub_nc_u32_e32 v2, v1, v0
	v_lshrrev_b16 v3, 15, v2
	s_delay_alu instid0(VALU_DEP_1) | instskip(NEXT) | instid1(VALU_DEP_1)
	v_add_nc_u16 v2, v2, v3
	v_ashrrev_i16 v2, 1, v2
	s_delay_alu instid0(VALU_DEP_1) | instskip(NEXT) | instid1(VALU_DEP_1)
	v_bfe_i32 v2, v2, 0, 16
	v_add_nc_u32_e32 v2, v0, v2
	s_delay_alu instid0(VALU_DEP_1) | instskip(NEXT) | instid1(VALU_DEP_1)
	v_min_i32_e32 v2, 0xff, v2
	v_lshlrev_b32_e32 v3, 2, v2
	v_add_nc_u32_e32 v4, 1, v2
	ds_load_b32 v3, v3 offset:2048
	s_waitcnt lgkmcnt(0)
	v_cmp_gt_u32_e32 vcc_lo, v3, v6
	v_dual_cndmask_b32 v0, v4, v0 :: v_dual_cndmask_b32 v1, v1, v2
	s_delay_alu instid0(VALU_DEP_1) | instskip(NEXT) | instid1(VALU_DEP_1)
	v_sub_nc_u32_e32 v2, v1, v0
	v_lshrrev_b16 v3, 15, v2
	s_delay_alu instid0(VALU_DEP_1) | instskip(NEXT) | instid1(VALU_DEP_1)
	v_add_nc_u16 v2, v2, v3
	v_ashrrev_i16 v2, 1, v2
	s_delay_alu instid0(VALU_DEP_1) | instskip(NEXT) | instid1(VALU_DEP_1)
	v_bfe_i32 v2, v2, 0, 16
	v_add_nc_u32_e32 v2, v0, v2
	s_delay_alu instid0(VALU_DEP_1) | instskip(NEXT) | instid1(VALU_DEP_1)
	v_min_i32_e32 v2, 0xff, v2
	v_lshlrev_b32_e32 v3, 2, v2
	v_add_nc_u32_e32 v4, 1, v2
	ds_load_b32 v3, v3 offset:2048
	s_waitcnt lgkmcnt(0)
	v_cmp_gt_u32_e32 vcc_lo, v3, v6
	v_dual_cndmask_b32 v0, v4, v0 :: v_dual_cndmask_b32 v1, v1, v2
	s_delay_alu instid0(VALU_DEP_1) | instskip(NEXT) | instid1(VALU_DEP_1)
	v_sub_nc_u32_e32 v2, v1, v0
	v_lshrrev_b16 v3, 15, v2
	s_delay_alu instid0(VALU_DEP_1) | instskip(NEXT) | instid1(VALU_DEP_1)
	v_add_nc_u16 v2, v2, v3
	v_ashrrev_i16 v2, 1, v2
	s_delay_alu instid0(VALU_DEP_1) | instskip(NEXT) | instid1(VALU_DEP_1)
	v_bfe_i32 v2, v2, 0, 16
	v_add_nc_u32_e32 v2, v0, v2
	s_delay_alu instid0(VALU_DEP_1) | instskip(NEXT) | instid1(VALU_DEP_1)
	v_min_i32_e32 v2, 0xff, v2
	v_lshlrev_b32_e32 v3, 2, v2
	v_add_nc_u32_e32 v4, 1, v2
	ds_load_b32 v3, v3 offset:2048
	s_waitcnt lgkmcnt(0)
	v_cmp_gt_u32_e32 vcc_lo, v3, v6
	v_dual_cndmask_b32 v0, v4, v0 :: v_dual_cndmask_b32 v1, v1, v2
	s_delay_alu instid0(VALU_DEP_1) | instskip(NEXT) | instid1(VALU_DEP_1)
	v_sub_nc_u32_e32 v1, v1, v0
	v_lshrrev_b16 v2, 15, v1
	s_delay_alu instid0(VALU_DEP_1) | instskip(NEXT) | instid1(VALU_DEP_1)
	v_add_nc_u16 v1, v1, v2
	v_ashrrev_i16 v1, 1, v1
	s_delay_alu instid0(VALU_DEP_1) | instskip(NEXT) | instid1(VALU_DEP_1)
	v_bfe_i32 v1, v1, 0, 16
	v_add_nc_u32_e32 v1, v0, v1
	s_delay_alu instid0(VALU_DEP_1) | instskip(NEXT) | instid1(VALU_DEP_1)
	v_min_i32_e32 v1, 0xff, v1
	v_lshlrev_b32_e32 v2, 2, v1
	v_add_nc_u32_e32 v1, 1, v1
	ds_load_b32 v2, v2 offset:2048
	s_waitcnt lgkmcnt(0)
	v_cmp_gt_u32_e32 vcc_lo, v2, v6
	v_dual_cndmask_b32 v15, v1, v0 :: v_dual_add_nc_u32 v2, 1, v6
	s_delay_alu instid0(VALU_DEP_1)
	v_lshlrev_b32_e32 v4, 2, v15
	v_lshl_add_u32 v0, v15, 3, -8
	ds_load_b32 v7, v4 offset:2048
	ds_load_b64 v[0:1], v0
	s_waitcnt lgkmcnt(1)
	v_cmp_eq_u32_e32 vcc_lo, v2, v7
	s_waitcnt lgkmcnt(0)
	v_dual_mov_b32 v3, v1 :: v_dual_mov_b32 v2, v0
	s_and_saveexec_b32 s6, vcc_lo
	s_cbranch_execz .LBB1_7
; %bb.6:                                ;   in Loop: Header=BB1_5 Depth=2
	v_lshlrev_b32_e32 v2, 3, v15
	v_add_nc_u32_e32 v15, 1, v15
	ds_load_b64 v[2:3], v2
	ds_load_b32 v7, v4 offset:2052
.LBB1_7:                                ;   in Loop: Header=BB1_5 Depth=2
	s_or_b32 exec_lo, exec_lo, s6
	v_add_nc_u32_e32 v4, 2, v6
	s_waitcnt lgkmcnt(0)
	s_delay_alu instid0(VALU_DEP_1)
	v_cmp_eq_u32_e32 vcc_lo, v4, v7
	v_dual_mov_b32 v5, v3 :: v_dual_mov_b32 v4, v2
	s_and_saveexec_b32 s6, vcc_lo
	s_cbranch_execz .LBB1_9
; %bb.8:                                ;   in Loop: Header=BB1_5 Depth=2
	v_add_nc_u32_e32 v16, 1, v15
	s_delay_alu instid0(VALU_DEP_1)
	v_dual_mov_b32 v15, v16 :: v_dual_lshlrev_b32 v4, 3, v15
	v_lshlrev_b32_e32 v7, 2, v16
	ds_load_b64 v[4:5], v4
	ds_load_b32 v7, v7 offset:2048
.LBB1_9:                                ;   in Loop: Header=BB1_5 Depth=2
	s_or_b32 exec_lo, exec_lo, s6
	v_add_nc_u32_e32 v6, 3, v6
	s_waitcnt lgkmcnt(0)
	s_delay_alu instid0(VALU_DEP_1)
	v_cmp_eq_u32_e32 vcc_lo, v6, v7
	v_dual_mov_b32 v7, v5 :: v_dual_mov_b32 v6, v4
	s_and_saveexec_b32 s6, vcc_lo
	s_cbranch_execz .LBB1_11
; %bb.10:                               ;   in Loop: Header=BB1_5 Depth=2
	v_lshlrev_b32_e32 v6, 3, v15
	ds_load_b64 v[6:7], v6
.LBB1_11:                               ;   in Loop: Header=BB1_5 Depth=2
	s_or_b32 exec_lo, exec_lo, s6
	s_delay_alu instid0(SALU_CYCLE_1)
	s_and_not1_b32 vcc_lo, exec_lo, s8
	s_cbranch_vccnz .LBB1_4
; %bb.12:                               ;   in Loop: Header=BB1_5 Depth=2
	global_store_b128 v[10:11], v[0:3], off offset:-16
	s_waitcnt lgkmcnt(0)
	global_store_b128 v[10:11], v[4:7], off
	s_branch .LBB1_4
.LBB1_13:
	s_nop 0
	s_sendmsg sendmsg(MSG_DEALLOC_VGPRS)
	s_endpgm
	.section	.rodata,"a",@progbits
	.p2align	6, 0x0
	.amdhsa_kernel _Z30block_run_length_decode_kernelIdxLj128ELj2ELj4ELj100EEvPKT_PKT0_PS0_b
		.amdhsa_group_segment_fixed_size 3072
		.amdhsa_private_segment_fixed_size 0
		.amdhsa_kernarg_size 28
		.amdhsa_user_sgpr_count 15
		.amdhsa_user_sgpr_dispatch_ptr 0
		.amdhsa_user_sgpr_queue_ptr 0
		.amdhsa_user_sgpr_kernarg_segment_ptr 1
		.amdhsa_user_sgpr_dispatch_id 0
		.amdhsa_user_sgpr_private_segment_size 0
		.amdhsa_wavefront_size32 1
		.amdhsa_uses_dynamic_stack 0
		.amdhsa_enable_private_segment 0
		.amdhsa_system_sgpr_workgroup_id_x 1
		.amdhsa_system_sgpr_workgroup_id_y 0
		.amdhsa_system_sgpr_workgroup_id_z 0
		.amdhsa_system_sgpr_workgroup_info 0
		.amdhsa_system_vgpr_workitem_id 0
		.amdhsa_next_free_vgpr 17
		.amdhsa_next_free_sgpr 16
		.amdhsa_reserve_vcc 1
		.amdhsa_float_round_mode_32 0
		.amdhsa_float_round_mode_16_64 0
		.amdhsa_float_denorm_mode_32 3
		.amdhsa_float_denorm_mode_16_64 3
		.amdhsa_dx10_clamp 1
		.amdhsa_ieee_mode 1
		.amdhsa_fp16_overflow 0
		.amdhsa_workgroup_processor_mode 1
		.amdhsa_memory_ordered 1
		.amdhsa_forward_progress 0
		.amdhsa_shared_vgpr_count 0
		.amdhsa_exception_fp_ieee_invalid_op 0
		.amdhsa_exception_fp_denorm_src 0
		.amdhsa_exception_fp_ieee_div_zero 0
		.amdhsa_exception_fp_ieee_overflow 0
		.amdhsa_exception_fp_ieee_underflow 0
		.amdhsa_exception_fp_ieee_inexact 0
		.amdhsa_exception_int_div_zero 0
	.end_amdhsa_kernel
	.section	.text._Z30block_run_length_decode_kernelIdxLj128ELj2ELj4ELj100EEvPKT_PKT0_PS0_b,"axG",@progbits,_Z30block_run_length_decode_kernelIdxLj128ELj2ELj4ELj100EEvPKT_PKT0_PS0_b,comdat
.Lfunc_end1:
	.size	_Z30block_run_length_decode_kernelIdxLj128ELj2ELj4ELj100EEvPKT_PKT0_PS0_b, .Lfunc_end1-_Z30block_run_length_decode_kernelIdxLj128ELj2ELj4ELj100EEvPKT_PKT0_PS0_b
                                        ; -- End function
	.section	.AMDGPU.csdata,"",@progbits
; Kernel info:
; codeLenInByte = 1432
; NumSgprs: 18
; NumVgprs: 17
; ScratchSize: 0
; MemoryBound: 0
; FloatMode: 240
; IeeeMode: 1
; LDSByteSize: 3072 bytes/workgroup (compile time only)
; SGPRBlocks: 2
; VGPRBlocks: 2
; NumSGPRsForWavesPerEU: 18
; NumVGPRsForWavesPerEU: 17
; Occupancy: 16
; WaveLimiterHint : 0
; COMPUTE_PGM_RSRC2:SCRATCH_EN: 0
; COMPUTE_PGM_RSRC2:USER_SGPR: 15
; COMPUTE_PGM_RSRC2:TRAP_HANDLER: 0
; COMPUTE_PGM_RSRC2:TGID_X_EN: 1
; COMPUTE_PGM_RSRC2:TGID_Y_EN: 0
; COMPUTE_PGM_RSRC2:TGID_Z_EN: 0
; COMPUTE_PGM_RSRC2:TIDIG_COMP_CNT: 0
	.section	.text._Z30block_run_length_decode_kernelInnLj128ELj2ELj4ELj100EEvPKT_PKT0_PS0_b,"axG",@progbits,_Z30block_run_length_decode_kernelInnLj128ELj2ELj4ELj100EEvPKT_PKT0_PS0_b,comdat
	.protected	_Z30block_run_length_decode_kernelInnLj128ELj2ELj4ELj100EEvPKT_PKT0_PS0_b ; -- Begin function _Z30block_run_length_decode_kernelInnLj128ELj2ELj4ELj100EEvPKT_PKT0_PS0_b
	.globl	_Z30block_run_length_decode_kernelInnLj128ELj2ELj4ELj100EEvPKT_PKT0_PS0_b
	.p2align	8
	.type	_Z30block_run_length_decode_kernelInnLj128ELj2ELj4ELj100EEvPKT_PKT0_PS0_b,@function
_Z30block_run_length_decode_kernelInnLj128ELj2ELj4ELj100EEvPKT_PKT0_PS0_b: ; @_Z30block_run_length_decode_kernelInnLj128ELj2ELj4ELj100EEvPKT_PKT0_PS0_b
; %bb.0:
	s_clause 0x1
	s_load_b128 s[4:7], s[0:1], 0x0
	s_load_b64 s[8:9], s[0:1], 0x10
	v_lshl_or_b32 v12, s15, 7, v0
	v_mov_b32_e32 v9, 0
	s_load_b32 s0, s[0:1], 0x18
	s_mov_b32 s1, 0
	v_lshlrev_b32_e32 v14, 3, v0
	v_lshlrev_b32_e32 v8, 1, v12
	s_mov_b32 s3, s1
	v_dual_mov_b32 v20, 0x80 :: v_dual_lshlrev_b32 v17, 2, v0
	s_delay_alu instid0(VALU_DEP_2) | instskip(SKIP_1) | instid1(VALU_DEP_1)
	v_lshlrev_b64 v[1:2], 4, v[8:9]
	s_waitcnt lgkmcnt(0)
	v_add_co_u32 v5, vcc_lo, s4, v1
	s_delay_alu instid0(VALU_DEP_2)
	v_add_co_ci_u32_e32 v6, vcc_lo, s5, v2, vcc_lo
	v_add_co_u32 v10, vcc_lo, s6, v1
	v_add_co_ci_u32_e32 v11, vcc_lo, s7, v2, vcc_lo
	global_load_b128 v[1:4], v[5:6], off
	global_load_b32 v13, v[10:11], off
	global_load_b128 v[5:8], v[5:6], off offset:16
	global_load_b32 v10, v[10:11], off offset:16
	s_bitcmp1_b32 s0, 0
	v_lshlrev_b32_e32 v11, 5, v0
	s_cselect_b32 s10, -1, 0
	s_lshl_b32 s2, s15, 8
	s_waitcnt vmcnt(3)
	ds_store_b128 v11, v[1:4]
	s_waitcnt vmcnt(2)
	ds_store_b32 v14, v13 offset:4096
	s_waitcnt vmcnt(1)
	ds_store_b128 v11, v[5:8] offset:16
	s_waitcnt vmcnt(0)
	ds_store_b32 v14, v10 offset:4100
	s_add_i32 s0, s2, 0x100
	s_waitcnt lgkmcnt(0)
	s_lshl_b64 s[4:5], s[0:1], 4
	s_barrier
	s_add_u32 s4, s6, s4
	s_addc_u32 s5, s7, s5
	s_lshl_b64 s[2:3], s[2:3], 4
	buffer_gl0_inv
	s_add_u32 s2, s6, s2
	s_addc_u32 s3, s7, s3
	s_clause 0x1
	s_load_b128 s[4:7], s[4:5], 0x0
	s_load_b128 s[12:15], s[2:3], 0x0
	ds_load_b32 v16, v9 offset:4608
	v_lshlrev_b32_e32 v8, 2, v12
	s_waitcnt lgkmcnt(0)
	s_sub_u32 s2, s4, s12
	s_subb_u32 s3, s5, s13
	s_subb_u32 s4, s6, s14
	;; [unrolled: 1-line block ×3, first 2 shown]
	s_cmp_lg_u64 s[2:3], 0
	v_cmp_gt_i64_e64 s0, s[4:5], 0
	s_delay_alu instid0(VALU_DEP_1) | instskip(SKIP_4) | instid1(VALU_DEP_1)
	v_cndmask_b32_e64 v1, 0, 1, s0
	s_cselect_b32 s0, -1, 0
	s_cmp_eq_u64 s[4:5], 0
	v_cndmask_b32_e64 v2, 0, 1, s0
	s_cselect_b32 vcc_lo, -1, 0
	v_cndmask_b32_e32 v3, v1, v2, vcc_lo
	v_lshlrev_b64 v[1:2], 4, v[8:9]
	s_delay_alu instid0(VALU_DEP_2) | instskip(NEXT) | instid1(VALU_DEP_2)
	v_and_b32_e32 v0, 1, v3
	v_add_co_u32 v18, vcc_lo, s8, v1
	s_delay_alu instid0(VALU_DEP_3) | instskip(NEXT) | instid1(VALU_DEP_3)
	v_add_co_ci_u32_e32 v19, vcc_lo, s9, v2, vcc_lo
	v_cmp_eq_u32_e64 s0, 1, v0
	s_branch .LBB2_2
.LBB2_1:                                ;   in Loop: Header=BB2_2 Depth=1
	s_add_i32 s1, s1, 1
	s_delay_alu instid0(SALU_CYCLE_1)
	s_cmpk_eq_i32 s1, 0x64
	s_cbranch_scc1 .LBB2_13
.LBB2_2:                                ; =>This Loop Header: Depth=1
                                        ;     Child Loop BB2_5 Depth 2
	s_delay_alu instid0(VALU_DEP_1)
	s_and_not1_b32 vcc_lo, exec_lo, s0
	s_cbranch_vccnz .LBB2_1
; %bb.3:                                ;   in Loop: Header=BB2_2 Depth=1
	s_mov_b64 s[6:7], 0
	s_mov_b64 s[8:9], 0
	s_branch .LBB2_5
.LBB2_4:                                ;   in Loop: Header=BB2_5 Depth=2
	s_add_u32 s8, s8, 0x200
	s_addc_u32 s9, s9, 0
	s_addc_u32 s6, s6, 0
	v_cmp_lt_u64_e64 s11, s[8:9], s[2:3]
	s_addc_u32 s7, s7, 0
	s_delay_alu instid0(SALU_CYCLE_1) | instskip(SKIP_1) | instid1(VALU_DEP_1)
	s_cmp_eq_u64 s[6:7], s[4:5]
	s_cselect_b32 vcc_lo, -1, 0
	v_cndmask_b32_e64 v0, 0, 1, s11
	v_cmp_lt_i64_e64 s11, s[6:7], s[4:5]
	s_delay_alu instid0(VALU_DEP_1) | instskip(NEXT) | instid1(VALU_DEP_1)
	v_cndmask_b32_e64 v1, 0, 1, s11
	v_cndmask_b32_e32 v0, v1, v0, vcc_lo
	s_delay_alu instid0(VALU_DEP_1) | instskip(NEXT) | instid1(VALU_DEP_1)
	v_and_b32_e32 v0, 1, v0
	v_cmp_eq_u32_e32 vcc_lo, 1, v0
	s_cbranch_vccz .LBB2_1
.LBB2_5:                                ;   Parent Loop BB2_2 Depth=1
                                        ; =>  This Inner Loop Header: Depth=2
	s_waitcnt lgkmcnt(0)
	v_add_nc_u32_e32 v12, s8, v17
	s_delay_alu instid0(VALU_DEP_1) | instskip(SKIP_2) | instid1(VALU_DEP_2)
	v_cmp_gt_u32_e32 vcc_lo, v16, v12
	v_cndmask_b32_e64 v1, 0xc0, 64, vcc_lo
	v_cndmask_b32_e64 v0, 0x81, 0, vcc_lo
	v_dual_cndmask_b32 v3, 0x100, v20 :: v_dual_lshlrev_b32 v2, 2, v1
	v_or_b32_e32 v4, 1, v1
	ds_load_b32 v2, v2 offset:4096
	s_waitcnt lgkmcnt(0)
	v_cmp_gt_u32_e32 vcc_lo, v2, v12
	v_dual_cndmask_b32 v0, v4, v0 :: v_dual_cndmask_b32 v1, v3, v1
	s_delay_alu instid0(VALU_DEP_1) | instskip(NEXT) | instid1(VALU_DEP_1)
	v_sub_nc_u32_e32 v2, v1, v0
	v_lshrrev_b16 v3, 15, v2
	s_delay_alu instid0(VALU_DEP_1) | instskip(NEXT) | instid1(VALU_DEP_1)
	v_add_nc_u16 v2, v2, v3
	v_ashrrev_i16 v2, 1, v2
	s_delay_alu instid0(VALU_DEP_1) | instskip(NEXT) | instid1(VALU_DEP_1)
	v_bfe_i32 v2, v2, 0, 16
	v_add_nc_u32_e32 v2, v0, v2
	s_delay_alu instid0(VALU_DEP_1) | instskip(NEXT) | instid1(VALU_DEP_1)
	v_min_i32_e32 v2, 0xff, v2
	v_add_nc_u32_e32 v4, 1, v2
	v_lshlrev_b32_e32 v3, 2, v2
	ds_load_b32 v3, v3 offset:4096
	s_waitcnt lgkmcnt(0)
	v_cmp_gt_u32_e32 vcc_lo, v3, v12
	v_dual_cndmask_b32 v0, v4, v0 :: v_dual_cndmask_b32 v1, v1, v2
	s_delay_alu instid0(VALU_DEP_1) | instskip(NEXT) | instid1(VALU_DEP_1)
	v_sub_nc_u32_e32 v2, v1, v0
	v_lshrrev_b16 v3, 15, v2
	s_delay_alu instid0(VALU_DEP_1) | instskip(NEXT) | instid1(VALU_DEP_1)
	v_add_nc_u16 v2, v2, v3
	v_ashrrev_i16 v2, 1, v2
	s_delay_alu instid0(VALU_DEP_1) | instskip(NEXT) | instid1(VALU_DEP_1)
	v_bfe_i32 v2, v2, 0, 16
	v_add_nc_u32_e32 v2, v0, v2
	s_delay_alu instid0(VALU_DEP_1) | instskip(NEXT) | instid1(VALU_DEP_1)
	v_min_i32_e32 v2, 0xff, v2
	v_add_nc_u32_e32 v4, 1, v2
	v_lshlrev_b32_e32 v3, 2, v2
	ds_load_b32 v3, v3 offset:4096
	s_waitcnt lgkmcnt(0)
	v_cmp_gt_u32_e32 vcc_lo, v3, v12
	v_dual_cndmask_b32 v0, v4, v0 :: v_dual_cndmask_b32 v1, v1, v2
	s_delay_alu instid0(VALU_DEP_1) | instskip(NEXT) | instid1(VALU_DEP_1)
	v_sub_nc_u32_e32 v2, v1, v0
	v_lshrrev_b16 v3, 15, v2
	s_delay_alu instid0(VALU_DEP_1) | instskip(NEXT) | instid1(VALU_DEP_1)
	v_add_nc_u16 v2, v2, v3
	v_ashrrev_i16 v2, 1, v2
	s_delay_alu instid0(VALU_DEP_1) | instskip(NEXT) | instid1(VALU_DEP_1)
	v_bfe_i32 v2, v2, 0, 16
	v_add_nc_u32_e32 v2, v0, v2
	s_delay_alu instid0(VALU_DEP_1) | instskip(NEXT) | instid1(VALU_DEP_1)
	v_min_i32_e32 v2, 0xff, v2
	v_lshlrev_b32_e32 v3, 2, v2
	v_add_nc_u32_e32 v4, 1, v2
	ds_load_b32 v3, v3 offset:4096
	s_waitcnt lgkmcnt(0)
	v_cmp_gt_u32_e32 vcc_lo, v3, v12
	v_dual_cndmask_b32 v0, v4, v0 :: v_dual_cndmask_b32 v1, v1, v2
	s_delay_alu instid0(VALU_DEP_1) | instskip(NEXT) | instid1(VALU_DEP_1)
	v_sub_nc_u32_e32 v2, v1, v0
	v_lshrrev_b16 v3, 15, v2
	s_delay_alu instid0(VALU_DEP_1) | instskip(NEXT) | instid1(VALU_DEP_1)
	v_add_nc_u16 v2, v2, v3
	v_ashrrev_i16 v2, 1, v2
	s_delay_alu instid0(VALU_DEP_1) | instskip(NEXT) | instid1(VALU_DEP_1)
	v_bfe_i32 v2, v2, 0, 16
	v_add_nc_u32_e32 v2, v0, v2
	s_delay_alu instid0(VALU_DEP_1) | instskip(NEXT) | instid1(VALU_DEP_1)
	v_min_i32_e32 v2, 0xff, v2
	v_lshlrev_b32_e32 v3, 2, v2
	v_add_nc_u32_e32 v4, 1, v2
	ds_load_b32 v3, v3 offset:4096
	s_waitcnt lgkmcnt(0)
	v_cmp_gt_u32_e32 vcc_lo, v3, v12
	v_dual_cndmask_b32 v0, v4, v0 :: v_dual_cndmask_b32 v1, v1, v2
	s_delay_alu instid0(VALU_DEP_1) | instskip(NEXT) | instid1(VALU_DEP_1)
	v_sub_nc_u32_e32 v2, v1, v0
	v_lshrrev_b16 v3, 15, v2
	s_delay_alu instid0(VALU_DEP_1) | instskip(NEXT) | instid1(VALU_DEP_1)
	v_add_nc_u16 v2, v2, v3
	v_ashrrev_i16 v2, 1, v2
	s_delay_alu instid0(VALU_DEP_1) | instskip(NEXT) | instid1(VALU_DEP_1)
	v_bfe_i32 v2, v2, 0, 16
	v_add_nc_u32_e32 v2, v0, v2
	s_delay_alu instid0(VALU_DEP_1) | instskip(NEXT) | instid1(VALU_DEP_1)
	v_min_i32_e32 v2, 0xff, v2
	v_lshlrev_b32_e32 v3, 2, v2
	v_add_nc_u32_e32 v4, 1, v2
	ds_load_b32 v3, v3 offset:4096
	s_waitcnt lgkmcnt(0)
	v_cmp_gt_u32_e32 vcc_lo, v3, v12
	v_dual_cndmask_b32 v0, v4, v0 :: v_dual_cndmask_b32 v1, v1, v2
	s_delay_alu instid0(VALU_DEP_1) | instskip(NEXT) | instid1(VALU_DEP_1)
	v_sub_nc_u32_e32 v2, v1, v0
	v_lshrrev_b16 v3, 15, v2
	s_delay_alu instid0(VALU_DEP_1) | instskip(NEXT) | instid1(VALU_DEP_1)
	v_add_nc_u16 v2, v2, v3
	v_ashrrev_i16 v2, 1, v2
	s_delay_alu instid0(VALU_DEP_1) | instskip(NEXT) | instid1(VALU_DEP_1)
	v_bfe_i32 v2, v2, 0, 16
	v_add_nc_u32_e32 v2, v0, v2
	s_delay_alu instid0(VALU_DEP_1) | instskip(NEXT) | instid1(VALU_DEP_1)
	v_min_i32_e32 v2, 0xff, v2
	v_lshlrev_b32_e32 v3, 2, v2
	v_add_nc_u32_e32 v4, 1, v2
	ds_load_b32 v3, v3 offset:4096
	s_waitcnt lgkmcnt(0)
	v_cmp_gt_u32_e32 vcc_lo, v3, v12
	v_dual_cndmask_b32 v0, v4, v0 :: v_dual_cndmask_b32 v1, v1, v2
	v_or_b32_e32 v4, 1, v12
	s_delay_alu instid0(VALU_DEP_2) | instskip(NEXT) | instid1(VALU_DEP_1)
	v_sub_nc_u32_e32 v1, v1, v0
	v_lshrrev_b16 v2, 15, v1
	s_delay_alu instid0(VALU_DEP_1) | instskip(NEXT) | instid1(VALU_DEP_1)
	v_add_nc_u16 v1, v1, v2
	v_ashrrev_i16 v1, 1, v1
	s_delay_alu instid0(VALU_DEP_1) | instskip(NEXT) | instid1(VALU_DEP_1)
	v_bfe_i32 v1, v1, 0, 16
	v_add_nc_u32_e32 v1, v0, v1
	s_delay_alu instid0(VALU_DEP_1) | instskip(NEXT) | instid1(VALU_DEP_1)
	v_min_i32_e32 v1, 0xff, v1
	v_lshlrev_b32_e32 v2, 2, v1
	v_add_nc_u32_e32 v1, 1, v1
	ds_load_b32 v2, v2 offset:4096
	s_waitcnt lgkmcnt(0)
	v_cmp_gt_u32_e32 vcc_lo, v2, v12
	v_cndmask_b32_e32 v21, v1, v0, vcc_lo
	s_delay_alu instid0(VALU_DEP_1)
	v_lshlrev_b32_e32 v8, 2, v21
	v_lshl_add_u32 v0, v21, 4, -16
	ds_load_b32 v14, v8 offset:4096
	ds_load_b128 v[0:3], v0
	s_waitcnt lgkmcnt(1)
	v_cmp_eq_u32_e32 vcc_lo, v4, v14
	s_waitcnt lgkmcnt(0)
	v_mov_b32_e32 v5, v1
	v_dual_mov_b32 v7, v3 :: v_dual_mov_b32 v6, v2
	v_mov_b32_e32 v4, v0
	s_and_saveexec_b32 s11, vcc_lo
	s_cbranch_execz .LBB2_7
; %bb.6:                                ;   in Loop: Header=BB2_5 Depth=2
	v_lshlrev_b32_e32 v4, 4, v21
	v_add_nc_u32_e32 v21, 1, v21
	ds_load_b128 v[4:7], v4
	ds_load_b32 v14, v8 offset:4100
.LBB2_7:                                ;   in Loop: Header=BB2_5 Depth=2
	s_or_b32 exec_lo, exec_lo, s11
	v_or_b32_e32 v10, 2, v12
	s_waitcnt lgkmcnt(1)
	v_dual_mov_b32 v9, v5 :: v_dual_mov_b32 v8, v4
	s_waitcnt lgkmcnt(0)
	s_delay_alu instid0(VALU_DEP_2)
	v_cmp_eq_u32_e32 vcc_lo, v10, v14
	v_dual_mov_b32 v11, v7 :: v_dual_mov_b32 v10, v6
	s_and_saveexec_b32 s11, vcc_lo
	s_cbranch_execz .LBB2_9
; %bb.8:                                ;   in Loop: Header=BB2_5 Depth=2
	v_add_nc_u32_e32 v13, 1, v21
	s_delay_alu instid0(VALU_DEP_1)
	v_dual_mov_b32 v21, v13 :: v_dual_lshlrev_b32 v8, 4, v21
	v_lshlrev_b32_e32 v14, 2, v13
	ds_load_b128 v[8:11], v8
	ds_load_b32 v14, v14 offset:4096
.LBB2_9:                                ;   in Loop: Header=BB2_5 Depth=2
	s_or_b32 exec_lo, exec_lo, s11
	v_or_b32_e32 v15, 3, v12
	s_waitcnt lgkmcnt(1)
	v_dual_mov_b32 v13, v9 :: v_dual_mov_b32 v12, v8
	s_waitcnt lgkmcnt(0)
	s_delay_alu instid0(VALU_DEP_2)
	v_cmp_eq_u32_e32 vcc_lo, v15, v14
	v_dual_mov_b32 v15, v11 :: v_dual_mov_b32 v14, v10
	s_and_saveexec_b32 s11, vcc_lo
	s_cbranch_execz .LBB2_11
; %bb.10:                               ;   in Loop: Header=BB2_5 Depth=2
	v_lshlrev_b32_e32 v12, 4, v21
	ds_load_b128 v[12:15], v12
.LBB2_11:                               ;   in Loop: Header=BB2_5 Depth=2
	s_or_b32 exec_lo, exec_lo, s11
	s_delay_alu instid0(SALU_CYCLE_1)
	s_and_not1_b32 vcc_lo, exec_lo, s10
	s_cbranch_vccnz .LBB2_4
; %bb.12:                               ;   in Loop: Header=BB2_5 Depth=2
	s_lshl_b64 s[12:13], s[8:9], 4
	s_delay_alu instid0(SALU_CYCLE_1)
	v_add_co_u32 v21, vcc_lo, v18, s12
	v_add_co_ci_u32_e32 v22, vcc_lo, s13, v19, vcc_lo
	s_clause 0x2
	global_store_b128 v[21:22], v[0:3], off
	global_store_b128 v[21:22], v[4:7], off offset:16
	global_store_b128 v[21:22], v[8:11], off offset:32
	s_waitcnt lgkmcnt(0)
	global_store_b128 v[21:22], v[12:15], off offset:48
	s_branch .LBB2_4
.LBB2_13:
	s_nop 0
	s_sendmsg sendmsg(MSG_DEALLOC_VGPRS)
	s_endpgm
	.section	.rodata,"a",@progbits
	.p2align	6, 0x0
	.amdhsa_kernel _Z30block_run_length_decode_kernelInnLj128ELj2ELj4ELj100EEvPKT_PKT0_PS0_b
		.amdhsa_group_segment_fixed_size 5120
		.amdhsa_private_segment_fixed_size 0
		.amdhsa_kernarg_size 28
		.amdhsa_user_sgpr_count 15
		.amdhsa_user_sgpr_dispatch_ptr 0
		.amdhsa_user_sgpr_queue_ptr 0
		.amdhsa_user_sgpr_kernarg_segment_ptr 1
		.amdhsa_user_sgpr_dispatch_id 0
		.amdhsa_user_sgpr_private_segment_size 0
		.amdhsa_wavefront_size32 1
		.amdhsa_uses_dynamic_stack 0
		.amdhsa_enable_private_segment 0
		.amdhsa_system_sgpr_workgroup_id_x 1
		.amdhsa_system_sgpr_workgroup_id_y 0
		.amdhsa_system_sgpr_workgroup_id_z 0
		.amdhsa_system_sgpr_workgroup_info 0
		.amdhsa_system_vgpr_workitem_id 0
		.amdhsa_next_free_vgpr 23
		.amdhsa_next_free_sgpr 16
		.amdhsa_reserve_vcc 1
		.amdhsa_float_round_mode_32 0
		.amdhsa_float_round_mode_16_64 0
		.amdhsa_float_denorm_mode_32 3
		.amdhsa_float_denorm_mode_16_64 3
		.amdhsa_dx10_clamp 1
		.amdhsa_ieee_mode 1
		.amdhsa_fp16_overflow 0
		.amdhsa_workgroup_processor_mode 1
		.amdhsa_memory_ordered 1
		.amdhsa_forward_progress 0
		.amdhsa_shared_vgpr_count 0
		.amdhsa_exception_fp_ieee_invalid_op 0
		.amdhsa_exception_fp_denorm_src 0
		.amdhsa_exception_fp_ieee_div_zero 0
		.amdhsa_exception_fp_ieee_overflow 0
		.amdhsa_exception_fp_ieee_underflow 0
		.amdhsa_exception_fp_ieee_inexact 0
		.amdhsa_exception_int_div_zero 0
	.end_amdhsa_kernel
	.section	.text._Z30block_run_length_decode_kernelInnLj128ELj2ELj4ELj100EEvPKT_PKT0_PS0_b,"axG",@progbits,_Z30block_run_length_decode_kernelInnLj128ELj2ELj4ELj100EEvPKT_PKT0_PS0_b,comdat
.Lfunc_end2:
	.size	_Z30block_run_length_decode_kernelInnLj128ELj2ELj4ELj100EEvPKT_PKT0_PS0_b, .Lfunc_end2-_Z30block_run_length_decode_kernelInnLj128ELj2ELj4ELj100EEvPKT_PKT0_PS0_b
                                        ; -- End function
	.section	.AMDGPU.csdata,"",@progbits
; Kernel info:
; codeLenInByte = 1608
; NumSgprs: 18
; NumVgprs: 23
; ScratchSize: 0
; MemoryBound: 0
; FloatMode: 240
; IeeeMode: 1
; LDSByteSize: 5120 bytes/workgroup (compile time only)
; SGPRBlocks: 2
; VGPRBlocks: 2
; NumSGPRsForWavesPerEU: 18
; NumVGPRsForWavesPerEU: 23
; Occupancy: 16
; WaveLimiterHint : 0
; COMPUTE_PGM_RSRC2:SCRATCH_EN: 0
; COMPUTE_PGM_RSRC2:USER_SGPR: 15
; COMPUTE_PGM_RSRC2:TRAP_HANDLER: 0
; COMPUTE_PGM_RSRC2:TGID_X_EN: 1
; COMPUTE_PGM_RSRC2:TGID_Y_EN: 0
; COMPUTE_PGM_RSRC2:TGID_Z_EN: 0
; COMPUTE_PGM_RSRC2:TIDIG_COMP_CNT: 0
	.section	.text._Z30block_run_length_decode_kernelIooLj128ELj2ELj4ELj100EEvPKT_PKT0_PS0_b,"axG",@progbits,_Z30block_run_length_decode_kernelIooLj128ELj2ELj4ELj100EEvPKT_PKT0_PS0_b,comdat
	.protected	_Z30block_run_length_decode_kernelIooLj128ELj2ELj4ELj100EEvPKT_PKT0_PS0_b ; -- Begin function _Z30block_run_length_decode_kernelIooLj128ELj2ELj4ELj100EEvPKT_PKT0_PS0_b
	.globl	_Z30block_run_length_decode_kernelIooLj128ELj2ELj4ELj100EEvPKT_PKT0_PS0_b
	.p2align	8
	.type	_Z30block_run_length_decode_kernelIooLj128ELj2ELj4ELj100EEvPKT_PKT0_PS0_b,@function
_Z30block_run_length_decode_kernelIooLj128ELj2ELj4ELj100EEvPKT_PKT0_PS0_b: ; @_Z30block_run_length_decode_kernelIooLj128ELj2ELj4ELj100EEvPKT_PKT0_PS0_b
; %bb.0:
	s_clause 0x1
	s_load_b128 s[4:7], s[0:1], 0x0
	s_load_b64 s[8:9], s[0:1], 0x10
	v_lshl_or_b32 v12, s15, 7, v0
	v_mov_b32_e32 v9, 0
	s_load_b32 s0, s[0:1], 0x18
	s_mov_b32 s1, 0
	v_lshlrev_b32_e32 v14, 3, v0
	v_lshlrev_b32_e32 v8, 1, v12
	s_mov_b32 s3, s1
	v_dual_mov_b32 v20, 0x80 :: v_dual_lshlrev_b32 v17, 2, v0
	s_delay_alu instid0(VALU_DEP_2) | instskip(SKIP_1) | instid1(VALU_DEP_1)
	v_lshlrev_b64 v[1:2], 4, v[8:9]
	s_waitcnt lgkmcnt(0)
	v_add_co_u32 v5, vcc_lo, s4, v1
	s_delay_alu instid0(VALU_DEP_2)
	v_add_co_ci_u32_e32 v6, vcc_lo, s5, v2, vcc_lo
	v_add_co_u32 v10, vcc_lo, s6, v1
	v_add_co_ci_u32_e32 v11, vcc_lo, s7, v2, vcc_lo
	global_load_b128 v[1:4], v[5:6], off
	global_load_b32 v13, v[10:11], off
	global_load_b128 v[5:8], v[5:6], off offset:16
	global_load_b32 v10, v[10:11], off offset:16
	s_bitcmp1_b32 s0, 0
	v_lshlrev_b32_e32 v11, 5, v0
	s_cselect_b32 s10, -1, 0
	s_lshl_b32 s2, s15, 8
	s_waitcnt vmcnt(3)
	ds_store_b128 v11, v[1:4]
	s_waitcnt vmcnt(2)
	ds_store_b32 v14, v13 offset:4096
	s_waitcnt vmcnt(1)
	ds_store_b128 v11, v[5:8] offset:16
	s_waitcnt vmcnt(0)
	ds_store_b32 v14, v10 offset:4100
	s_add_i32 s0, s2, 0x100
	s_waitcnt lgkmcnt(0)
	s_lshl_b64 s[4:5], s[0:1], 4
	s_barrier
	s_add_u32 s4, s6, s4
	s_addc_u32 s5, s7, s5
	s_lshl_b64 s[2:3], s[2:3], 4
	buffer_gl0_inv
	s_add_u32 s2, s6, s2
	s_addc_u32 s3, s7, s3
	s_clause 0x1
	s_load_b128 s[12:15], s[4:5], 0x0
	s_load_b128 s[16:19], s[2:3], 0x0
	ds_load_b32 v16, v9 offset:4608
	v_lshlrev_b32_e32 v8, 2, v12
	s_delay_alu instid0(VALU_DEP_1) | instskip(NEXT) | instid1(VALU_DEP_1)
	v_lshlrev_b64 v[1:2], 4, v[8:9]
	v_add_co_u32 v18, vcc_lo, s8, v1
	s_delay_alu instid0(VALU_DEP_2)
	v_add_co_ci_u32_e32 v19, vcc_lo, s9, v2, vcc_lo
	s_waitcnt lgkmcnt(0)
	s_sub_u32 s2, s12, s16
	s_subb_u32 s3, s13, s17
	s_subb_u32 s4, s14, s18
	s_subb_u32 s5, s15, s19
	s_xor_b64 s[6:7], s[14:15], s[18:19]
	s_xor_b64 s[12:13], s[12:13], s[16:17]
	s_delay_alu instid0(SALU_CYCLE_1) | instskip(NEXT) | instid1(SALU_CYCLE_1)
	s_or_b64 s[6:7], s[12:13], s[6:7]
	s_cmp_lg_u64 s[6:7], 0
	s_cselect_b32 s0, -1, 0
	s_branch .LBB3_2
.LBB3_1:                                ;   in Loop: Header=BB3_2 Depth=1
	s_add_i32 s1, s1, 1
	s_delay_alu instid0(SALU_CYCLE_1)
	s_cmpk_eq_i32 s1, 0x64
	s_cbranch_scc1 .LBB3_13
.LBB3_2:                                ; =>This Loop Header: Depth=1
                                        ;     Child Loop BB3_5 Depth 2
	s_and_not1_b32 vcc_lo, exec_lo, s0
	s_cbranch_vccnz .LBB3_1
; %bb.3:                                ;   in Loop: Header=BB3_2 Depth=1
	s_mov_b64 s[6:7], 0
	s_mov_b64 s[8:9], 0
	s_branch .LBB3_5
.LBB3_4:                                ;   in Loop: Header=BB3_5 Depth=2
	s_add_u32 s8, s8, 0x200
	s_addc_u32 s9, s9, 0
	s_addc_u32 s6, s6, 0
	v_cmp_lt_u64_e64 s11, s[8:9], s[2:3]
	s_addc_u32 s7, s7, 0
	s_delay_alu instid0(SALU_CYCLE_1) | instskip(SKIP_1) | instid1(VALU_DEP_1)
	s_cmp_eq_u64 s[6:7], s[4:5]
	s_cselect_b32 vcc_lo, -1, 0
	v_cndmask_b32_e64 v0, 0, 1, s11
	v_cmp_lt_u64_e64 s11, s[6:7], s[4:5]
	s_delay_alu instid0(VALU_DEP_1) | instskip(NEXT) | instid1(VALU_DEP_1)
	v_cndmask_b32_e64 v1, 0, 1, s11
	v_cndmask_b32_e32 v0, v1, v0, vcc_lo
	s_delay_alu instid0(VALU_DEP_1) | instskip(NEXT) | instid1(VALU_DEP_1)
	v_and_b32_e32 v0, 1, v0
	v_cmp_eq_u32_e32 vcc_lo, 1, v0
	s_cbranch_vccz .LBB3_1
.LBB3_5:                                ;   Parent Loop BB3_2 Depth=1
                                        ; =>  This Inner Loop Header: Depth=2
	s_waitcnt lgkmcnt(0)
	v_add_nc_u32_e32 v12, s8, v17
	s_delay_alu instid0(VALU_DEP_1) | instskip(SKIP_2) | instid1(VALU_DEP_2)
	v_cmp_gt_u32_e32 vcc_lo, v16, v12
	v_cndmask_b32_e64 v1, 0xc0, 64, vcc_lo
	v_cndmask_b32_e64 v0, 0x81, 0, vcc_lo
	v_dual_cndmask_b32 v3, 0x100, v20 :: v_dual_lshlrev_b32 v2, 2, v1
	v_or_b32_e32 v4, 1, v1
	ds_load_b32 v2, v2 offset:4096
	s_waitcnt lgkmcnt(0)
	v_cmp_gt_u32_e32 vcc_lo, v2, v12
	v_dual_cndmask_b32 v0, v4, v0 :: v_dual_cndmask_b32 v1, v3, v1
	s_delay_alu instid0(VALU_DEP_1) | instskip(NEXT) | instid1(VALU_DEP_1)
	v_sub_nc_u32_e32 v2, v1, v0
	v_lshrrev_b16 v3, 15, v2
	s_delay_alu instid0(VALU_DEP_1) | instskip(NEXT) | instid1(VALU_DEP_1)
	v_add_nc_u16 v2, v2, v3
	v_ashrrev_i16 v2, 1, v2
	s_delay_alu instid0(VALU_DEP_1) | instskip(NEXT) | instid1(VALU_DEP_1)
	v_bfe_i32 v2, v2, 0, 16
	v_add_nc_u32_e32 v2, v0, v2
	s_delay_alu instid0(VALU_DEP_1) | instskip(NEXT) | instid1(VALU_DEP_1)
	v_min_i32_e32 v2, 0xff, v2
	v_add_nc_u32_e32 v4, 1, v2
	v_lshlrev_b32_e32 v3, 2, v2
	ds_load_b32 v3, v3 offset:4096
	s_waitcnt lgkmcnt(0)
	v_cmp_gt_u32_e32 vcc_lo, v3, v12
	v_dual_cndmask_b32 v0, v4, v0 :: v_dual_cndmask_b32 v1, v1, v2
	s_delay_alu instid0(VALU_DEP_1) | instskip(NEXT) | instid1(VALU_DEP_1)
	v_sub_nc_u32_e32 v2, v1, v0
	v_lshrrev_b16 v3, 15, v2
	s_delay_alu instid0(VALU_DEP_1) | instskip(NEXT) | instid1(VALU_DEP_1)
	v_add_nc_u16 v2, v2, v3
	v_ashrrev_i16 v2, 1, v2
	s_delay_alu instid0(VALU_DEP_1) | instskip(NEXT) | instid1(VALU_DEP_1)
	v_bfe_i32 v2, v2, 0, 16
	v_add_nc_u32_e32 v2, v0, v2
	s_delay_alu instid0(VALU_DEP_1) | instskip(NEXT) | instid1(VALU_DEP_1)
	v_min_i32_e32 v2, 0xff, v2
	v_add_nc_u32_e32 v4, 1, v2
	v_lshlrev_b32_e32 v3, 2, v2
	ds_load_b32 v3, v3 offset:4096
	s_waitcnt lgkmcnt(0)
	v_cmp_gt_u32_e32 vcc_lo, v3, v12
	v_dual_cndmask_b32 v0, v4, v0 :: v_dual_cndmask_b32 v1, v1, v2
	s_delay_alu instid0(VALU_DEP_1) | instskip(NEXT) | instid1(VALU_DEP_1)
	v_sub_nc_u32_e32 v2, v1, v0
	v_lshrrev_b16 v3, 15, v2
	s_delay_alu instid0(VALU_DEP_1) | instskip(NEXT) | instid1(VALU_DEP_1)
	v_add_nc_u16 v2, v2, v3
	v_ashrrev_i16 v2, 1, v2
	s_delay_alu instid0(VALU_DEP_1) | instskip(NEXT) | instid1(VALU_DEP_1)
	v_bfe_i32 v2, v2, 0, 16
	v_add_nc_u32_e32 v2, v0, v2
	s_delay_alu instid0(VALU_DEP_1) | instskip(NEXT) | instid1(VALU_DEP_1)
	v_min_i32_e32 v2, 0xff, v2
	v_lshlrev_b32_e32 v3, 2, v2
	v_add_nc_u32_e32 v4, 1, v2
	ds_load_b32 v3, v3 offset:4096
	s_waitcnt lgkmcnt(0)
	v_cmp_gt_u32_e32 vcc_lo, v3, v12
	v_dual_cndmask_b32 v0, v4, v0 :: v_dual_cndmask_b32 v1, v1, v2
	s_delay_alu instid0(VALU_DEP_1) | instskip(NEXT) | instid1(VALU_DEP_1)
	v_sub_nc_u32_e32 v2, v1, v0
	v_lshrrev_b16 v3, 15, v2
	s_delay_alu instid0(VALU_DEP_1) | instskip(NEXT) | instid1(VALU_DEP_1)
	v_add_nc_u16 v2, v2, v3
	v_ashrrev_i16 v2, 1, v2
	s_delay_alu instid0(VALU_DEP_1) | instskip(NEXT) | instid1(VALU_DEP_1)
	v_bfe_i32 v2, v2, 0, 16
	v_add_nc_u32_e32 v2, v0, v2
	s_delay_alu instid0(VALU_DEP_1) | instskip(NEXT) | instid1(VALU_DEP_1)
	v_min_i32_e32 v2, 0xff, v2
	v_lshlrev_b32_e32 v3, 2, v2
	v_add_nc_u32_e32 v4, 1, v2
	;; [unrolled: 17-line block ×4, first 2 shown]
	ds_load_b32 v3, v3 offset:4096
	s_waitcnt lgkmcnt(0)
	v_cmp_gt_u32_e32 vcc_lo, v3, v12
	v_dual_cndmask_b32 v0, v4, v0 :: v_dual_cndmask_b32 v1, v1, v2
	v_or_b32_e32 v4, 1, v12
	s_delay_alu instid0(VALU_DEP_2) | instskip(NEXT) | instid1(VALU_DEP_1)
	v_sub_nc_u32_e32 v1, v1, v0
	v_lshrrev_b16 v2, 15, v1
	s_delay_alu instid0(VALU_DEP_1) | instskip(NEXT) | instid1(VALU_DEP_1)
	v_add_nc_u16 v1, v1, v2
	v_ashrrev_i16 v1, 1, v1
	s_delay_alu instid0(VALU_DEP_1) | instskip(NEXT) | instid1(VALU_DEP_1)
	v_bfe_i32 v1, v1, 0, 16
	v_add_nc_u32_e32 v1, v0, v1
	s_delay_alu instid0(VALU_DEP_1) | instskip(NEXT) | instid1(VALU_DEP_1)
	v_min_i32_e32 v1, 0xff, v1
	v_lshlrev_b32_e32 v2, 2, v1
	v_add_nc_u32_e32 v1, 1, v1
	ds_load_b32 v2, v2 offset:4096
	s_waitcnt lgkmcnt(0)
	v_cmp_gt_u32_e32 vcc_lo, v2, v12
	v_cndmask_b32_e32 v21, v1, v0, vcc_lo
	s_delay_alu instid0(VALU_DEP_1)
	v_lshlrev_b32_e32 v8, 2, v21
	v_lshl_add_u32 v0, v21, 4, -16
	ds_load_b32 v14, v8 offset:4096
	ds_load_b128 v[0:3], v0
	s_waitcnt lgkmcnt(1)
	v_cmp_eq_u32_e32 vcc_lo, v4, v14
	s_waitcnt lgkmcnt(0)
	v_mov_b32_e32 v5, v1
	v_dual_mov_b32 v7, v3 :: v_dual_mov_b32 v6, v2
	v_mov_b32_e32 v4, v0
	s_and_saveexec_b32 s11, vcc_lo
	s_cbranch_execz .LBB3_7
; %bb.6:                                ;   in Loop: Header=BB3_5 Depth=2
	v_lshlrev_b32_e32 v4, 4, v21
	v_add_nc_u32_e32 v21, 1, v21
	ds_load_b128 v[4:7], v4
	ds_load_b32 v14, v8 offset:4100
.LBB3_7:                                ;   in Loop: Header=BB3_5 Depth=2
	s_or_b32 exec_lo, exec_lo, s11
	v_or_b32_e32 v10, 2, v12
	s_waitcnt lgkmcnt(1)
	v_dual_mov_b32 v9, v5 :: v_dual_mov_b32 v8, v4
	s_waitcnt lgkmcnt(0)
	s_delay_alu instid0(VALU_DEP_2)
	v_cmp_eq_u32_e32 vcc_lo, v10, v14
	v_dual_mov_b32 v11, v7 :: v_dual_mov_b32 v10, v6
	s_and_saveexec_b32 s11, vcc_lo
	s_cbranch_execz .LBB3_9
; %bb.8:                                ;   in Loop: Header=BB3_5 Depth=2
	v_add_nc_u32_e32 v13, 1, v21
	s_delay_alu instid0(VALU_DEP_1)
	v_dual_mov_b32 v21, v13 :: v_dual_lshlrev_b32 v8, 4, v21
	v_lshlrev_b32_e32 v14, 2, v13
	ds_load_b128 v[8:11], v8
	ds_load_b32 v14, v14 offset:4096
.LBB3_9:                                ;   in Loop: Header=BB3_5 Depth=2
	s_or_b32 exec_lo, exec_lo, s11
	v_or_b32_e32 v15, 3, v12
	s_waitcnt lgkmcnt(1)
	v_dual_mov_b32 v13, v9 :: v_dual_mov_b32 v12, v8
	s_waitcnt lgkmcnt(0)
	s_delay_alu instid0(VALU_DEP_2)
	v_cmp_eq_u32_e32 vcc_lo, v15, v14
	v_dual_mov_b32 v15, v11 :: v_dual_mov_b32 v14, v10
	s_and_saveexec_b32 s11, vcc_lo
	s_cbranch_execz .LBB3_11
; %bb.10:                               ;   in Loop: Header=BB3_5 Depth=2
	v_lshlrev_b32_e32 v12, 4, v21
	ds_load_b128 v[12:15], v12
.LBB3_11:                               ;   in Loop: Header=BB3_5 Depth=2
	s_or_b32 exec_lo, exec_lo, s11
	s_delay_alu instid0(SALU_CYCLE_1)
	s_and_not1_b32 vcc_lo, exec_lo, s10
	s_cbranch_vccnz .LBB3_4
; %bb.12:                               ;   in Loop: Header=BB3_5 Depth=2
	s_lshl_b64 s[12:13], s[8:9], 4
	s_delay_alu instid0(SALU_CYCLE_1)
	v_add_co_u32 v21, vcc_lo, v18, s12
	v_add_co_ci_u32_e32 v22, vcc_lo, s13, v19, vcc_lo
	s_clause 0x2
	global_store_b128 v[21:22], v[0:3], off
	global_store_b128 v[21:22], v[4:7], off offset:16
	global_store_b128 v[21:22], v[8:11], off offset:32
	s_waitcnt lgkmcnt(0)
	global_store_b128 v[21:22], v[12:15], off offset:48
	s_branch .LBB3_4
.LBB3_13:
	s_nop 0
	s_sendmsg sendmsg(MSG_DEALLOC_VGPRS)
	s_endpgm
	.section	.rodata,"a",@progbits
	.p2align	6, 0x0
	.amdhsa_kernel _Z30block_run_length_decode_kernelIooLj128ELj2ELj4ELj100EEvPKT_PKT0_PS0_b
		.amdhsa_group_segment_fixed_size 5120
		.amdhsa_private_segment_fixed_size 0
		.amdhsa_kernarg_size 28
		.amdhsa_user_sgpr_count 15
		.amdhsa_user_sgpr_dispatch_ptr 0
		.amdhsa_user_sgpr_queue_ptr 0
		.amdhsa_user_sgpr_kernarg_segment_ptr 1
		.amdhsa_user_sgpr_dispatch_id 0
		.amdhsa_user_sgpr_private_segment_size 0
		.amdhsa_wavefront_size32 1
		.amdhsa_uses_dynamic_stack 0
		.amdhsa_enable_private_segment 0
		.amdhsa_system_sgpr_workgroup_id_x 1
		.amdhsa_system_sgpr_workgroup_id_y 0
		.amdhsa_system_sgpr_workgroup_id_z 0
		.amdhsa_system_sgpr_workgroup_info 0
		.amdhsa_system_vgpr_workitem_id 0
		.amdhsa_next_free_vgpr 23
		.amdhsa_next_free_sgpr 20
		.amdhsa_reserve_vcc 1
		.amdhsa_float_round_mode_32 0
		.amdhsa_float_round_mode_16_64 0
		.amdhsa_float_denorm_mode_32 3
		.amdhsa_float_denorm_mode_16_64 3
		.amdhsa_dx10_clamp 1
		.amdhsa_ieee_mode 1
		.amdhsa_fp16_overflow 0
		.amdhsa_workgroup_processor_mode 1
		.amdhsa_memory_ordered 1
		.amdhsa_forward_progress 0
		.amdhsa_shared_vgpr_count 0
		.amdhsa_exception_fp_ieee_invalid_op 0
		.amdhsa_exception_fp_denorm_src 0
		.amdhsa_exception_fp_ieee_div_zero 0
		.amdhsa_exception_fp_ieee_overflow 0
		.amdhsa_exception_fp_ieee_underflow 0
		.amdhsa_exception_fp_ieee_inexact 0
		.amdhsa_exception_int_div_zero 0
	.end_amdhsa_kernel
	.section	.text._Z30block_run_length_decode_kernelIooLj128ELj2ELj4ELj100EEvPKT_PKT0_PS0_b,"axG",@progbits,_Z30block_run_length_decode_kernelIooLj128ELj2ELj4ELj100EEvPKT_PKT0_PS0_b,comdat
.Lfunc_end3:
	.size	_Z30block_run_length_decode_kernelIooLj128ELj2ELj4ELj100EEvPKT_PKT0_PS0_b, .Lfunc_end3-_Z30block_run_length_decode_kernelIooLj128ELj2ELj4ELj100EEvPKT_PKT0_PS0_b
                                        ; -- End function
	.section	.AMDGPU.csdata,"",@progbits
; Kernel info:
; codeLenInByte = 1568
; NumSgprs: 22
; NumVgprs: 23
; ScratchSize: 0
; MemoryBound: 0
; FloatMode: 240
; IeeeMode: 1
; LDSByteSize: 5120 bytes/workgroup (compile time only)
; SGPRBlocks: 2
; VGPRBlocks: 2
; NumSGPRsForWavesPerEU: 22
; NumVGPRsForWavesPerEU: 23
; Occupancy: 16
; WaveLimiterHint : 0
; COMPUTE_PGM_RSRC2:SCRATCH_EN: 0
; COMPUTE_PGM_RSRC2:USER_SGPR: 15
; COMPUTE_PGM_RSRC2:TRAP_HANDLER: 0
; COMPUTE_PGM_RSRC2:TGID_X_EN: 1
; COMPUTE_PGM_RSRC2:TGID_Y_EN: 0
; COMPUTE_PGM_RSRC2:TGID_Z_EN: 0
; COMPUTE_PGM_RSRC2:TIDIG_COMP_CNT: 0
	.text
	.p2alignl 7, 3214868480
	.fill 96, 4, 3214868480
	.type	__hip_cuid_2cd19106f93c1246,@object ; @__hip_cuid_2cd19106f93c1246
	.section	.bss,"aw",@nobits
	.globl	__hip_cuid_2cd19106f93c1246
__hip_cuid_2cd19106f93c1246:
	.byte	0                               ; 0x0
	.size	__hip_cuid_2cd19106f93c1246, 1

	.ident	"AMD clang version 19.0.0git (https://github.com/RadeonOpenCompute/llvm-project roc-6.4.0 25133 c7fe45cf4b819c5991fe208aaa96edf142730f1d)"
	.section	".note.GNU-stack","",@progbits
	.addrsig
	.addrsig_sym __hip_cuid_2cd19106f93c1246
	.amdgpu_metadata
---
amdhsa.kernels:
  - .args:
      - .address_space:  global
        .offset:         0
        .size:           8
        .value_kind:     global_buffer
      - .address_space:  global
        .offset:         8
        .size:           8
        .value_kind:     global_buffer
      - .address_space:  global
        .offset:         16
        .size:           8
        .value_kind:     global_buffer
      - .offset:         24
        .size:           1
        .value_kind:     by_value
    .group_segment_fixed_size: 2048
    .kernarg_segment_align: 8
    .kernarg_segment_size: 28
    .language:       OpenCL C
    .language_version:
      - 2
      - 0
    .max_flat_workgroup_size: 128
    .name:           _Z30block_run_length_decode_kernelIiiLj128ELj2ELj4ELj100EEvPKT_PKT0_PS0_b
    .private_segment_fixed_size: 0
    .sgpr_count:     18
    .sgpr_spill_count: 0
    .symbol:         _Z30block_run_length_decode_kernelIiiLj128ELj2ELj4ELj100EEvPKT_PKT0_PS0_b.kd
    .uniform_work_group_size: 1
    .uses_dynamic_stack: false
    .vgpr_count:     14
    .vgpr_spill_count: 0
    .wavefront_size: 32
    .workgroup_processor_mode: 1
  - .args:
      - .address_space:  global
        .offset:         0
        .size:           8
        .value_kind:     global_buffer
      - .address_space:  global
        .offset:         8
        .size:           8
        .value_kind:     global_buffer
      - .address_space:  global
        .offset:         16
        .size:           8
        .value_kind:     global_buffer
      - .offset:         24
        .size:           1
        .value_kind:     by_value
    .group_segment_fixed_size: 3072
    .kernarg_segment_align: 8
    .kernarg_segment_size: 28
    .language:       OpenCL C
    .language_version:
      - 2
      - 0
    .max_flat_workgroup_size: 128
    .name:           _Z30block_run_length_decode_kernelIdxLj128ELj2ELj4ELj100EEvPKT_PKT0_PS0_b
    .private_segment_fixed_size: 0
    .sgpr_count:     18
    .sgpr_spill_count: 0
    .symbol:         _Z30block_run_length_decode_kernelIdxLj128ELj2ELj4ELj100EEvPKT_PKT0_PS0_b.kd
    .uniform_work_group_size: 1
    .uses_dynamic_stack: false
    .vgpr_count:     17
    .vgpr_spill_count: 0
    .wavefront_size: 32
    .workgroup_processor_mode: 1
  - .args:
      - .address_space:  global
        .offset:         0
        .size:           8
        .value_kind:     global_buffer
      - .address_space:  global
        .offset:         8
        .size:           8
        .value_kind:     global_buffer
      - .address_space:  global
        .offset:         16
        .size:           8
        .value_kind:     global_buffer
      - .offset:         24
        .size:           1
        .value_kind:     by_value
    .group_segment_fixed_size: 5120
    .kernarg_segment_align: 8
    .kernarg_segment_size: 28
    .language:       OpenCL C
    .language_version:
      - 2
      - 0
    .max_flat_workgroup_size: 128
    .name:           _Z30block_run_length_decode_kernelInnLj128ELj2ELj4ELj100EEvPKT_PKT0_PS0_b
    .private_segment_fixed_size: 0
    .sgpr_count:     18
    .sgpr_spill_count: 0
    .symbol:         _Z30block_run_length_decode_kernelInnLj128ELj2ELj4ELj100EEvPKT_PKT0_PS0_b.kd
    .uniform_work_group_size: 1
    .uses_dynamic_stack: false
    .vgpr_count:     23
    .vgpr_spill_count: 0
    .wavefront_size: 32
    .workgroup_processor_mode: 1
  - .args:
      - .address_space:  global
        .offset:         0
        .size:           8
        .value_kind:     global_buffer
      - .address_space:  global
        .offset:         8
        .size:           8
        .value_kind:     global_buffer
      - .address_space:  global
        .offset:         16
        .size:           8
        .value_kind:     global_buffer
      - .offset:         24
        .size:           1
        .value_kind:     by_value
    .group_segment_fixed_size: 5120
    .kernarg_segment_align: 8
    .kernarg_segment_size: 28
    .language:       OpenCL C
    .language_version:
      - 2
      - 0
    .max_flat_workgroup_size: 128
    .name:           _Z30block_run_length_decode_kernelIooLj128ELj2ELj4ELj100EEvPKT_PKT0_PS0_b
    .private_segment_fixed_size: 0
    .sgpr_count:     22
    .sgpr_spill_count: 0
    .symbol:         _Z30block_run_length_decode_kernelIooLj128ELj2ELj4ELj100EEvPKT_PKT0_PS0_b.kd
    .uniform_work_group_size: 1
    .uses_dynamic_stack: false
    .vgpr_count:     23
    .vgpr_spill_count: 0
    .wavefront_size: 32
    .workgroup_processor_mode: 1
amdhsa.target:   amdgcn-amd-amdhsa--gfx1100
amdhsa.version:
  - 1
  - 2
...

	.end_amdgpu_metadata
